;; amdgpu-corpus repo=ROCm/rocFFT kind=compiled arch=gfx1030 opt=O3
	.text
	.amdgcn_target "amdgcn-amd-amdhsa--gfx1030"
	.amdhsa_code_object_version 6
	.protected	fft_rtc_fwd_len280_factors_8_5_7_wgs_392_tpt_56_half_op_CI_CI_sbcc_twdbase6_3step_dirReg_intrinsicReadWrite ; -- Begin function fft_rtc_fwd_len280_factors_8_5_7_wgs_392_tpt_56_half_op_CI_CI_sbcc_twdbase6_3step_dirReg_intrinsicReadWrite
	.globl	fft_rtc_fwd_len280_factors_8_5_7_wgs_392_tpt_56_half_op_CI_CI_sbcc_twdbase6_3step_dirReg_intrinsicReadWrite
	.p2align	8
	.type	fft_rtc_fwd_len280_factors_8_5_7_wgs_392_tpt_56_half_op_CI_CI_sbcc_twdbase6_3step_dirReg_intrinsicReadWrite,@function
fft_rtc_fwd_len280_factors_8_5_7_wgs_392_tpt_56_half_op_CI_CI_sbcc_twdbase6_3step_dirReg_intrinsicReadWrite: ; @fft_rtc_fwd_len280_factors_8_5_7_wgs_392_tpt_56_half_op_CI_CI_sbcc_twdbase6_3step_dirReg_intrinsicReadWrite
; %bb.0:
	s_clause 0x1
	s_load_dwordx8 s[8:15], s[4:5], 0x8
	s_load_dwordx2 s[28:29], s[4:5], 0x28
	s_mov_b32 s0, exec_lo
	v_cmpx_gt_u32_e32 0xc0, v0
	s_cbranch_execz .LBB0_2
; %bb.1:
	v_lshlrev_b32_e32 v1, 2, v0
	s_waitcnt lgkmcnt(0)
	global_load_dword v2, v1, s[8:9]
	v_add_nc_u32_e32 v1, 0, v1
	s_waitcnt vmcnt(0)
	ds_write_b32 v1, v2 offset:7840
.LBB0_2:
	s_or_b32 exec_lo, exec_lo, s0
	s_waitcnt lgkmcnt(0)
	s_load_dwordx2 s[30:31], s[12:13], 0x8
	s_waitcnt lgkmcnt(0)
	s_add_u32 s0, s30, -1
	s_addc_u32 s1, s31, -1
	s_add_u32 s2, 0, 0x92481000
	s_addc_u32 s3, 0, 0x64
	s_mul_hi_u32 s8, s2, -7
	s_add_i32 s3, s3, 0x249248c0
	s_sub_i32 s8, s8, s2
	s_mul_i32 s16, s3, -7
	s_mul_i32 s7, s2, -7
	s_add_i32 s8, s8, s16
	s_mul_hi_u32 s9, s2, s7
	s_mul_i32 s18, s2, s8
	s_mul_hi_u32 s16, s2, s8
	s_mul_hi_u32 s17, s3, s7
	s_mul_i32 s7, s3, s7
	s_add_u32 s9, s9, s18
	s_addc_u32 s16, 0, s16
	s_mul_hi_u32 s19, s3, s8
	s_add_u32 s7, s9, s7
	s_mul_i32 s8, s3, s8
	s_addc_u32 s7, s16, s17
	s_addc_u32 s9, s19, 0
	s_add_u32 s7, s7, s8
	v_add_co_u32 v1, s2, s2, s7
	s_addc_u32 s7, 0, s9
	s_cmp_lg_u32 s2, 0
	s_addc_u32 s2, s3, s7
	v_readfirstlane_b32 s3, v1
	s_mul_i32 s8, s0, s2
	s_mul_hi_u32 s7, s0, s2
	s_mul_hi_u32 s9, s1, s2
	s_mul_i32 s2, s1, s2
	s_mul_hi_u32 s16, s0, s3
	s_mul_hi_u32 s17, s1, s3
	s_mul_i32 s3, s1, s3
	s_add_u32 s8, s16, s8
	s_addc_u32 s7, 0, s7
	s_add_u32 s3, s8, s3
	s_addc_u32 s3, s7, s17
	s_addc_u32 s7, s9, 0
	s_add_u32 s2, s3, s2
	s_addc_u32 s3, 0, s7
	s_mul_i32 s8, s2, 7
	s_add_u32 s7, s2, 1
	v_sub_co_u32 v1, s0, s0, s8
	s_mul_hi_u32 s8, s2, 7
	s_addc_u32 s9, s3, 0
	s_mul_i32 s16, s3, 7
	v_sub_co_u32 v2, s17, v1, 7
	s_add_u32 s18, s2, 2
	s_addc_u32 s19, s3, 0
	s_add_i32 s8, s8, s16
	s_cmp_lg_u32 s0, 0
	v_readfirstlane_b32 s0, v2
	s_subb_u32 s1, s1, s8
	s_cmp_lg_u32 s17, 0
	s_subb_u32 s8, s1, 0
	s_cmp_gt_u32 s0, 6
	s_cselect_b32 s0, -1, 0
	s_cmp_eq_u32 s8, 0
	v_readfirstlane_b32 s8, v1
	s_cselect_b32 s0, s0, -1
	s_cmp_lg_u32 s0, 0
	s_cselect_b32 s0, s18, s7
	s_cselect_b32 s9, s19, s9
	s_cmp_gt_u32 s8, 6
	s_cselect_b32 s7, -1, 0
	s_cmp_eq_u32 s1, 0
	s_cselect_b32 s1, s7, -1
	s_mov_b32 s7, 0
	s_cmp_lg_u32 s1, 0
	s_cselect_b32 s0, s0, s2
	s_cselect_b32 s1, s9, s3
	s_add_u32 s0, s0, 1
	s_addc_u32 s1, s1, 0
	s_mov_b64 s[8:9], 0
	v_cmp_lt_u64_e64 s2, s[6:7], s[0:1]
	s_and_b32 vcc_lo, exec_lo, s2
	s_cbranch_vccnz .LBB0_4
; %bb.3:
	v_cvt_f32_u32_e32 v1, s0
	s_sub_i32 s3, 0, s0
	v_rcp_iflag_f32_e32 v1, v1
	v_mul_f32_e32 v1, 0x4f7ffffe, v1
	v_cvt_u32_f32_e32 v1, v1
	v_readfirstlane_b32 s2, v1
	s_mul_i32 s3, s3, s2
	s_mul_hi_u32 s3, s2, s3
	s_add_i32 s2, s2, s3
	s_mul_hi_u32 s2, s6, s2
	s_mul_i32 s3, s2, s0
	s_add_i32 s8, s2, 1
	s_sub_i32 s3, s6, s3
	s_sub_i32 s9, s3, s0
	s_cmp_ge_u32 s3, s0
	s_cselect_b32 s2, s8, s2
	s_cselect_b32 s3, s9, s3
	s_add_i32 s8, s2, 1
	s_cmp_ge_u32 s3, s0
	s_mov_b32 s9, s7
	s_cselect_b32 s8, s8, s2
.LBB0_4:
	s_load_dwordx4 s[24:27], s[14:15], 0x0
	s_load_dwordx4 s[16:19], s[28:29], 0x0
	s_clause 0x1
	s_load_dwordx4 s[20:23], s[4:5], 0x60
	s_load_dwordx2 s[2:3], s[4:5], 0x0
	s_mul_i32 s4, s8, s1
	s_mul_hi_u32 s5, s8, s0
	s_waitcnt lgkmcnt(0)
	s_mul_i32 s17, s8, s0
	s_add_i32 s5, s5, s4
	s_sub_u32 s33, s6, s17
	s_subb_u32 s4, 0, s5
	s_mul_hi_u32 s25, s33, 7
	s_mul_i32 s4, s4, 7
	v_cmp_lt_u64_e64 s5, s[10:11], 3
	s_add_i32 s25, s25, s4
	s_mul_i32 s33, s33, 7
	s_and_b32 vcc_lo, exec_lo, s5
	s_mul_i32 s4, s26, s25
	s_mul_hi_u32 s17, s26, s33
	s_mul_i32 s35, s18, s25
	s_mul_hi_u32 s36, s18, s33
	s_mul_i32 s34, s27, s33
	s_mul_i32 s37, s19, s33
	s_add_i32 s4, s17, s4
	s_add_i32 s17, s36, s35
	s_mul_i32 s27, s26, s33
	s_add_i32 s19, s4, s34
	s_add_i32 s44, s17, s37
	s_mul_i32 s17, s18, s33
	s_cbranch_vccnz .LBB0_14
; %bb.5:
	s_add_u32 s4, s28, 16
	s_addc_u32 s5, s29, 0
	s_add_u32 s34, s14, 16
	s_addc_u32 s35, s15, 0
	;; [unrolled: 2-line block ×3, first 2 shown]
	s_mov_b64 s[36:37], 2
	s_mov_b32 s38, 0
.LBB0_6:                                ; =>This Inner Loop Header: Depth=1
	s_load_dwordx2 s[40:41], s[12:13], 0x0
	s_waitcnt lgkmcnt(0)
	s_or_b64 s[42:43], s[8:9], s[40:41]
	s_mov_b32 s39, s43
                                        ; implicit-def: $sgpr42_sgpr43
	s_cmp_lg_u64 s[38:39], 0
	s_mov_b32 s39, -1
	s_cbranch_scc0 .LBB0_8
; %bb.7:                                ;   in Loop: Header=BB0_6 Depth=1
	v_cvt_f32_u32_e32 v1, s40
	v_cvt_f32_u32_e32 v2, s41
	s_sub_u32 s43, 0, s40
	s_subb_u32 s45, 0, s41
	v_fmac_f32_e32 v1, 0x4f800000, v2
	v_rcp_f32_e32 v1, v1
	v_mul_f32_e32 v1, 0x5f7ffffc, v1
	v_mul_f32_e32 v2, 0x2f800000, v1
	v_trunc_f32_e32 v2, v2
	v_fmac_f32_e32 v1, 0xcf800000, v2
	v_cvt_u32_f32_e32 v2, v2
	v_cvt_u32_f32_e32 v1, v1
	v_readfirstlane_b32 s39, v2
	v_readfirstlane_b32 s42, v1
	s_mul_i32 s46, s43, s39
	s_mul_hi_u32 s48, s43, s42
	s_mul_i32 s47, s45, s42
	s_add_i32 s46, s48, s46
	s_mul_i32 s49, s43, s42
	s_add_i32 s46, s46, s47
	s_mul_hi_u32 s48, s42, s49
	s_mul_hi_u32 s50, s39, s49
	s_mul_i32 s47, s39, s49
	s_mul_hi_u32 s49, s42, s46
	s_mul_i32 s42, s42, s46
	s_mul_hi_u32 s51, s39, s46
	s_add_u32 s42, s48, s42
	s_addc_u32 s48, 0, s49
	s_add_u32 s42, s42, s47
	s_mul_i32 s46, s39, s46
	s_addc_u32 s42, s48, s50
	s_addc_u32 s47, s51, 0
	s_add_u32 s42, s42, s46
	s_addc_u32 s46, 0, s47
	v_add_co_u32 v1, s42, v1, s42
	s_cmp_lg_u32 s42, 0
	s_addc_u32 s39, s39, s46
	v_readfirstlane_b32 s42, v1
	s_mul_i32 s46, s43, s39
	s_mul_hi_u32 s47, s43, s42
	s_mul_i32 s45, s45, s42
	s_add_i32 s46, s47, s46
	s_mul_i32 s43, s43, s42
	s_add_i32 s46, s46, s45
	s_mul_hi_u32 s47, s39, s43
	s_mul_i32 s48, s39, s43
	s_mul_hi_u32 s43, s42, s43
	s_mul_hi_u32 s49, s42, s46
	s_mul_i32 s42, s42, s46
	s_mul_hi_u32 s45, s39, s46
	s_add_u32 s42, s43, s42
	s_addc_u32 s43, 0, s49
	s_add_u32 s42, s42, s48
	s_mul_i32 s46, s39, s46
	s_addc_u32 s42, s43, s47
	s_addc_u32 s43, s45, 0
	s_add_u32 s42, s42, s46
	s_addc_u32 s43, 0, s43
	v_add_co_u32 v1, s42, v1, s42
	s_cmp_lg_u32 s42, 0
	s_addc_u32 s39, s39, s43
	v_readfirstlane_b32 s42, v1
	s_mul_i32 s45, s8, s39
	s_mul_hi_u32 s43, s8, s39
	s_mul_hi_u32 s46, s9, s39
	s_mul_i32 s39, s9, s39
	s_mul_hi_u32 s47, s8, s42
	s_mul_hi_u32 s48, s9, s42
	s_mul_i32 s42, s9, s42
	s_add_u32 s45, s47, s45
	s_addc_u32 s43, 0, s43
	s_add_u32 s42, s45, s42
	s_addc_u32 s42, s43, s48
	s_addc_u32 s43, s46, 0
	s_add_u32 s42, s42, s39
	s_addc_u32 s43, 0, s43
	s_mul_hi_u32 s39, s40, s42
	s_mul_i32 s46, s40, s43
	s_mul_i32 s47, s40, s42
	s_add_i32 s39, s39, s46
	v_sub_co_u32 v1, s46, s8, s47
	s_mul_i32 s45, s41, s42
	s_add_i32 s39, s39, s45
	v_sub_co_u32 v2, s47, v1, s40
	s_sub_i32 s45, s9, s39
	s_cmp_lg_u32 s46, 0
	s_subb_u32 s45, s45, s41
	s_cmp_lg_u32 s47, 0
	v_readfirstlane_b32 s47, v2
	s_subb_u32 s45, s45, 0
	s_cmp_ge_u32 s45, s41
	s_cselect_b32 s48, -1, 0
	s_cmp_ge_u32 s47, s40
	s_cselect_b32 s47, -1, 0
	s_cmp_eq_u32 s45, s41
	s_cselect_b32 s45, s47, s48
	s_add_u32 s47, s42, 1
	s_addc_u32 s48, s43, 0
	s_add_u32 s49, s42, 2
	s_addc_u32 s50, s43, 0
	s_cmp_lg_u32 s45, 0
	s_cselect_b32 s45, s49, s47
	s_cselect_b32 s47, s50, s48
	s_cmp_lg_u32 s46, 0
	v_readfirstlane_b32 s46, v1
	s_subb_u32 s39, s9, s39
	s_cmp_ge_u32 s39, s41
	s_cselect_b32 s48, -1, 0
	s_cmp_ge_u32 s46, s40
	s_cselect_b32 s46, -1, 0
	s_cmp_eq_u32 s39, s41
	s_cselect_b32 s39, s46, s48
	s_cmp_lg_u32 s39, 0
	s_mov_b32 s39, 0
	s_cselect_b32 s43, s47, s43
	s_cselect_b32 s42, s45, s42
.LBB0_8:                                ;   in Loop: Header=BB0_6 Depth=1
	s_andn2_b32 vcc_lo, exec_lo, s39
	s_cbranch_vccnz .LBB0_10
; %bb.9:                                ;   in Loop: Header=BB0_6 Depth=1
	v_cvt_f32_u32_e32 v1, s40
	s_sub_i32 s42, 0, s40
	v_rcp_iflag_f32_e32 v1, v1
	v_mul_f32_e32 v1, 0x4f7ffffe, v1
	v_cvt_u32_f32_e32 v1, v1
	v_readfirstlane_b32 s39, v1
	s_mul_i32 s42, s42, s39
	s_mul_hi_u32 s42, s39, s42
	s_add_i32 s39, s39, s42
	s_mul_hi_u32 s39, s8, s39
	s_mul_i32 s42, s39, s40
	s_add_i32 s43, s39, 1
	s_sub_i32 s42, s8, s42
	s_sub_i32 s45, s42, s40
	s_cmp_ge_u32 s42, s40
	s_cselect_b32 s39, s43, s39
	s_cselect_b32 s42, s45, s42
	s_add_i32 s43, s39, 1
	s_cmp_ge_u32 s42, s40
	s_cselect_b32 s42, s43, s39
	s_mov_b32 s43, s38
.LBB0_10:                               ;   in Loop: Header=BB0_6 Depth=1
	s_load_dwordx2 s[46:47], s[34:35], 0x0
	s_load_dwordx2 s[48:49], s[4:5], 0x0
	s_mul_i32 s1, s40, s1
	s_mul_hi_u32 s39, s40, s0
	s_mul_i32 s45, s41, s0
	s_mul_i32 s41, s42, s41
	s_mul_hi_u32 s50, s42, s40
	s_mul_i32 s51, s43, s40
	s_add_i32 s1, s39, s1
	s_add_i32 s39, s50, s41
	s_mul_i32 s52, s42, s40
	s_add_i32 s1, s1, s45
	s_add_i32 s39, s39, s51
	s_sub_u32 s8, s8, s52
	s_subb_u32 s9, s9, s39
	s_mul_i32 s0, s40, s0
	s_waitcnt lgkmcnt(0)
	s_mul_i32 s39, s46, s9
	s_mul_hi_u32 s41, s46, s8
	s_mul_i32 s45, s47, s8
	s_add_i32 s39, s41, s39
	s_mul_i32 s46, s46, s8
	s_mul_i32 s9, s48, s9
	s_mul_hi_u32 s41, s48, s8
	s_add_i32 s39, s39, s45
	s_add_u32 s27, s46, s27
	s_addc_u32 s19, s39, s19
	s_add_i32 s9, s41, s9
	s_mul_i32 s39, s49, s8
	s_mul_i32 s8, s48, s8
	s_add_i32 s9, s9, s39
	s_add_u32 s17, s8, s17
	s_addc_u32 s44, s9, s44
	s_add_u32 s36, s36, 1
	s_addc_u32 s37, s37, 0
	s_add_u32 s4, s4, 8
	v_cmp_ge_u64_e64 s8, s[36:37], s[10:11]
	s_addc_u32 s5, s5, 0
	s_add_u32 s34, s34, 8
	s_addc_u32 s35, s35, 0
	s_add_u32 s12, s12, 8
	s_addc_u32 s13, s13, 0
	s_and_b32 vcc_lo, exec_lo, s8
	s_cbranch_vccnz .LBB0_12
; %bb.11:                               ;   in Loop: Header=BB0_6 Depth=1
	s_mov_b64 s[8:9], s[42:43]
	s_branch .LBB0_6
.LBB0_12:
	v_cmp_lt_u64_e64 s1, s[6:7], s[0:1]
	s_mov_b64 s[8:9], 0
	s_and_b32 vcc_lo, exec_lo, s1
	s_cbranch_vccnz .LBB0_14
; %bb.13:
	v_cvt_f32_u32_e32 v1, s0
	s_sub_i32 s4, 0, s0
	v_rcp_iflag_f32_e32 v1, v1
	v_mul_f32_e32 v1, 0x4f7ffffe, v1
	v_cvt_u32_f32_e32 v1, v1
	v_readfirstlane_b32 s1, v1
	s_mul_i32 s4, s4, s1
	s_mul_hi_u32 s4, s1, s4
	s_add_i32 s1, s1, s4
	s_mul_hi_u32 s1, s6, s1
	s_mul_i32 s4, s1, s0
	s_add_i32 s5, s1, 1
	s_sub_i32 s4, s6, s4
	s_sub_i32 s6, s4, s0
	s_cmp_ge_u32 s4, s0
	s_cselect_b32 s1, s5, s1
	s_cselect_b32 s4, s6, s4
	s_add_i32 s5, s1, 1
	s_cmp_ge_u32 s4, s0
	s_cselect_b32 s8, s5, s1
.LBB0_14:
	s_lshl_b64 s[10:11], s[10:11], 3
	v_mul_hi_u32 v1, 0x24924925, v0
	s_add_u32 s0, s14, s10
	s_addc_u32 s1, s15, s11
	v_cmp_lt_u32_e32 vcc_lo, 0xf4, v0
	s_load_dword s1, s[0:1], 0x0
	v_cmp_gt_u32_e64 s0, 0xf5, v0
	s_mov_b32 s7, 0x31014000
	s_mov_b32 s6, -2
	v_mul_u32_u24_e32 v3, 7, v1
	v_add_nc_u32_e32 v7, 35, v1
	v_cndmask_b32_e64 v2, 0, 1, s0
	v_add_nc_u32_e32 v8, 0x46, v1
	v_add_nc_u32_e32 v9, 0x69, v1
	v_sub_nc_u32_e32 v10, v0, v3
	v_add_nc_u32_e32 v3, 0x8c, v1
	v_add_nc_u32_e32 v12, 0xaf, v1
	v_mul_lo_u32 v4, s24, v1
	v_add_nc_u32_e32 v13, 0xd2, v1
	v_add_co_u32 v5, s9, s33, v10
	v_add_co_ci_u32_e64 v6, null, s25, 0, s9
	v_mul_lo_u32 v14, s26, v10
	v_mul_lo_u32 v7, s24, v7
	s_waitcnt lgkmcnt(0)
	s_mul_i32 s1, s1, s8
	v_mul_lo_u32 v8, s24, v8
	s_add_i32 s14, s1, s27
	s_add_u32 s10, s28, s10
	s_addc_u32 s11, s29, s11
	s_add_u32 s12, s33, 7
	v_cmp_gt_u64_e64 s1, s[30:31], v[5:6]
	s_addc_u32 s13, s25, 0
	v_add_nc_u32_e32 v6, 0xf5, v1
	v_cmp_le_u64_e64 s9, s[12:13], s[30:31]
	v_mul_lo_u32 v9, s24, v9
	v_mul_lo_u32 v3, s24, v3
	v_cndmask_b32_e64 v11, 0, 1, s1
	v_mul_lo_u32 v12, s24, v12
	v_mul_lo_u32 v6, s24, v6
	s_or_b32 vcc_lo, vcc_lo, s9
	v_mul_lo_u32 v13, s24, v13
	v_cndmask_b32_e32 v2, v11, v2, vcc_lo
	v_add_lshl_u32 v4, v14, v4, 2
	v_add_lshl_u32 v7, v14, v7, 2
	;; [unrolled: 1-line block ×3, first 2 shown]
	s_mov_b32 s4, s20
	v_and_b32_e32 v2, 1, v2
	v_add_lshl_u32 v6, v14, v6, 2
	s_mov_b32 s5, s21
	s_lshl_b32 s1, s14, 2
	v_cmp_eq_u32_e32 vcc_lo, 1, v2
	v_add_lshl_u32 v2, v14, v8, 2
	v_add_lshl_u32 v8, v14, v9, 2
	;; [unrolled: 1-line block ×4, first 2 shown]
	v_cndmask_b32_e32 v4, -1, v4, vcc_lo
	v_cndmask_b32_e32 v7, -1, v7, vcc_lo
	;; [unrolled: 1-line block ×8, first 2 shown]
	s_clause 0x7
	buffer_load_dword v4, v4, s[4:7], s1 offen
	buffer_load_dword v7, v7, s[4:7], s1 offen
	;; [unrolled: 1-line block ×8, first 2 shown]
	s_load_dwordx2 s[4:5], s[10:11], 0x0
	s_waitcnt vmcnt(3)
	v_pk_add_f16 v15, v4, v2 neg_lo:[0,1] neg_hi:[0,1]
	s_waitcnt vmcnt(2)
	v_pk_add_f16 v3, v14, v3 op_sel:[1,1] op_sel_hi:[0,0] neg_lo:[0,1] neg_hi:[0,1]
	s_waitcnt vmcnt(1)
	v_pk_add_f16 v9, v7, v9 neg_lo:[0,1] neg_hi:[0,1]
	s_waitcnt vmcnt(0)
	v_pk_add_f16 v16, v8, v6 op_sel:[1,1] op_sel_hi:[0,0] neg_lo:[0,1] neg_hi:[0,1]
	v_pk_add_f16 v2, v15, v3 neg_lo:[0,1] neg_hi:[0,1]
	v_pk_add_f16 v13, v15, v3
	v_pk_add_f16 v6, v9, v16 neg_lo:[0,1] neg_hi:[0,1]
	v_pk_add_f16 v12, v9, v16
	v_pk_fma_f16 v3, v14, 2.0, v3 op_sel:[1,0,0] op_sel_hi:[0,0,1] neg_lo:[0,0,1] neg_hi:[0,0,1]
	v_pk_fma_f16 v8, v8, 2.0, v16 op_sel:[1,0,0] op_sel_hi:[0,0,1] neg_lo:[0,0,1] neg_hi:[0,0,1]
	v_bfi_b32 v2, 0xffff, v2, v13
	v_pk_fma_f16 v13, v4, 2.0, v15 op_sel_hi:[1,0,1] neg_lo:[0,0,1] neg_hi:[0,0,1]
	v_bfi_b32 v12, 0xffff, v6, v12
	v_pk_fma_f16 v6, v15, 2.0, v2 op_sel_hi:[1,0,1] neg_lo:[0,0,1] neg_hi:[0,0,1]
	v_pk_fma_f16 v15, v7, 2.0, v9 op_sel_hi:[1,0,1] neg_lo:[0,0,1] neg_hi:[0,0,1]
	;; [unrolled: 1-line block ×3, first 2 shown]
	v_pk_add_f16 v7, v13, v3 op_sel:[0,1] op_sel_hi:[1,0] neg_lo:[0,1] neg_hi:[0,1]
	v_pk_add_f16 v14, v15, v8 op_sel:[1,0] op_sel_hi:[0,1] neg_lo:[0,1] neg_hi:[0,1]
	v_pk_mul_f16 v9, 0x39a8, v4 op_sel_hi:[0,1]
	v_pk_fma_f16 v4, 0x39a8, v4, v6 op_sel_hi:[0,1,1] neg_lo:[0,1,0] neg_hi:[0,1,0]
	v_pk_add_f16 v3, v4, v9 op_sel:[0,1] op_sel_hi:[1,0] neg_lo:[0,1] neg_hi:[0,1]
	v_pk_add_f16 v8, v4, v9 op_sel:[0,1] op_sel_hi:[1,0]
	v_pk_add_f16 v9, v7, v14 neg_lo:[0,1] neg_hi:[0,1]
	v_pk_add_f16 v4, v7, v14
	v_bfi_b32 v8, 0xffff, v3, v8
	v_lshlrev_b32_e32 v3, 2, v10
	s_and_saveexec_b32 s1, s0
	s_cbranch_execz .LBB0_16
; %bb.15:
	v_alignbit_b32 v15, v15, v15, 16
	v_pk_fma_f16 v13, v13, 2.0, v7 op_sel_hi:[1,0,1] neg_lo:[0,0,1] neg_hi:[0,0,1]
	v_mul_u32_u24_e32 v18, 56, v1
	v_pk_fma_f16 v6, v6, 2.0, v8 op_sel_hi:[1,0,1] neg_lo:[0,0,1] neg_hi:[0,0,1]
	v_pk_fma_f16 v14, v15, 2.0, v14 op_sel_hi:[1,0,1] neg_lo:[0,0,1] neg_hi:[0,0,1]
	v_pk_mul_f16 v15, 0x39a8, v12 op_sel_hi:[0,1]
	v_pk_fma_f16 v12, 0x39a8, v12, v2 op_sel_hi:[0,1,1]
	v_lshrrev_b32_e32 v16, 16, v13
	v_pk_add_f16 v14, v13, v14 op_sel:[0,1] op_sel_hi:[1,0] neg_lo:[0,1] neg_hi:[0,1]
	v_pk_add_f16 v19, v12, v15 op_sel:[0,1] op_sel_hi:[1,0] neg_lo:[0,1] neg_hi:[0,1]
	v_pk_add_f16 v12, v12, v15 op_sel:[0,1] op_sel_hi:[1,0]
	v_lshrrev_b32_e32 v17, 16, v14
	v_fma_f16 v13, v13, 2.0, -v14
	v_bfi_b32 v12, 0xffff, v19, v12
	v_fma_f16 v15, v16, 2.0, -v17
	v_lshlrev_b32_e32 v17, 2, v18
	v_bfi_b32 v16, 0xffff, v9, v4
	v_pk_fma_f16 v2, v2, 2.0, v12 op_sel_hi:[1,0,1] neg_lo:[0,0,1] neg_hi:[0,0,1]
	v_lshlrev_b32_e32 v15, 16, v15
	v_add3_u32 v17, 0, v17, v3
	v_pk_fma_f16 v7, v7, 2.0, v16 op_sel_hi:[1,0,1] neg_lo:[0,0,1] neg_hi:[0,0,1]
	v_or_b32_sdwa v13, v15, v13 dst_sel:DWORD dst_unused:UNUSED_PAD src0_sel:DWORD src1_sel:WORD_0
	ds_write2_b32 v17, v14, v8 offset0:28 offset1:35
	ds_write2_b32 v17, v7, v2 offset0:14 offset1:21
	ds_write2_b32 v17, v13, v6 offset1:7
	ds_write2_b32 v17, v16, v12 offset0:42 offset1:49
.LBB0_16:
	s_or_b32 exec_lo, exec_lo, s1
	v_and_b32_e32 v6, 7, v1
	s_waitcnt lgkmcnt(0)
	s_barrier
	buffer_gl0_inv
	v_lshrrev_b32_e32 v12, 3, v1
	v_lshlrev_b32_e32 v2, 4, v6
	v_lshrrev_b32_e32 v15, 16, v4
	v_cmp_gt_u32_e32 vcc_lo, 0x118, v0
	v_mul_u32_u24_e32 v12, 40, v12
	global_load_dwordx4 v[16:19], v2, s[2:3]
	v_mul_u32_u24_e32 v2, 28, v1
	v_or_b32_e32 v6, v12, v6
	v_add3_u32 v2, 0, v2, v3
	v_mul_u32_u24_e32 v6, 28, v6
	ds_read_b32 v7, v2 offset:1568
	ds_read_b32 v14, v2 offset:3136
	;; [unrolled: 1-line block ×4, first 2 shown]
	ds_read_b32 v12, v2
	ds_read_u16 v13, v2 offset:2
	v_add3_u32 v3, 0, v6, v3
	s_waitcnt vmcnt(0) lgkmcnt(0)
	s_barrier
	buffer_gl0_inv
	v_lshrrev_b32_e32 v6, 16, v14
	v_lshrrev_b32_e32 v4, 16, v7
	;; [unrolled: 1-line block ×4, first 2 shown]
	v_mul_f16_sdwa v24, v16, v4 dst_sel:DWORD dst_unused:UNUSED_PAD src0_sel:WORD_1 src1_sel:DWORD
	v_mul_f16_sdwa v25, v16, v7 dst_sel:DWORD dst_unused:UNUSED_PAD src0_sel:WORD_1 src1_sel:DWORD
	;; [unrolled: 1-line block ×8, first 2 shown]
	v_fma_f16 v7, v16, v7, -v24
	v_fmac_f16_e32 v25, v16, v4
	v_fma_f16 v4, v17, v14, -v26
	v_fmac_f16_e32 v27, v17, v6
	v_fma_f16 v6, v18, v20, -v28
	v_fmac_f16_e32 v29, v18, v22
	v_fma_f16 v14, v19, v21, -v30
	v_fmac_f16_e32 v31, v19, v23
	v_add_f16_e32 v16, v7, v12
	v_add_f16_e32 v17, v4, v6
	;; [unrolled: 1-line block ×5, first 2 shown]
	v_sub_f16_e32 v23, v25, v31
	v_sub_f16_e32 v18, v7, v4
	;; [unrolled: 1-line block ×5, first 2 shown]
	v_add_f16_e32 v26, v13, v25
	v_sub_f16_e32 v7, v7, v14
	v_fma_f16 v17, -0.5, v17, v12
	v_fmac_f16_e32 v12, -0.5, v20
	v_fma_f16 v20, -0.5, v28, v13
	v_sub_f16_e32 v24, v27, v29
	v_sub_f16_e32 v30, v4, v6
	v_fmac_f16_e32 v13, -0.5, v34
	v_sub_f16_e32 v32, v25, v27
	v_sub_f16_e32 v33, v31, v29
	v_add_f16_e32 v4, v16, v4
	v_add_f16_e32 v36, v18, v19
	;; [unrolled: 1-line block ×4, first 2 shown]
	v_fmamk_f16 v18, v23, 0x3b9c, v17
	v_fmamk_f16 v21, v7, 0xbb9c, v20
	v_sub_f16_e32 v25, v27, v25
	v_sub_f16_e32 v35, v29, v31
	v_fmamk_f16 v19, v24, 0xbb9c, v12
	v_fmac_f16_e32 v12, 0x3b9c, v24
	v_fmamk_f16 v22, v30, 0x3b9c, v13
	v_fmac_f16_e32 v13, 0xbb9c, v30
	v_fmac_f16_e32 v17, 0xbb9c, v23
	;; [unrolled: 1-line block ×3, first 2 shown]
	v_add_f16_e32 v26, v32, v33
	v_add_f16_e32 v4, v4, v6
	;; [unrolled: 1-line block ×3, first 2 shown]
	v_fmac_f16_e32 v18, 0x38b4, v24
	v_fmac_f16_e32 v21, 0xb8b4, v30
	v_add_f16_e32 v25, v25, v35
	v_fmac_f16_e32 v19, 0x38b4, v23
	v_fmac_f16_e32 v12, 0xb8b4, v23
	;; [unrolled: 1-line block ×6, first 2 shown]
	v_add_f16_e32 v14, v4, v14
	v_add_f16_e32 v16, v6, v31
	v_fmac_f16_e32 v18, 0x34f2, v36
	v_fmac_f16_e32 v21, 0x34f2, v26
	;; [unrolled: 1-line block ×8, first 2 shown]
	v_pack_b32_f16 v4, v14, v16
	v_pack_b32_f16 v6, v18, v21
	;; [unrolled: 1-line block ×5, first 2 shown]
	ds_write2_b32 v3, v4, v6 offset1:56
	ds_write2_b32 v3, v7, v23 offset0:112 offset1:168
	ds_write_b32 v3, v24 offset:896
	s_waitcnt lgkmcnt(0)
	s_barrier
	buffer_gl0_inv
	s_and_saveexec_b32 s0, vcc_lo
	s_cbranch_execz .LBB0_18
; %bb.17:
	ds_read_b32 v14, v2
	ds_read_b32 v18, v2 offset:1120
	ds_read_b32 v19, v2 offset:2240
	;; [unrolled: 1-line block ×6, first 2 shown]
	s_waitcnt lgkmcnt(6)
	v_lshrrev_b32_e32 v16, 16, v14
	s_waitcnt lgkmcnt(5)
	v_lshrrev_b32_e32 v21, 16, v18
	;; [unrolled: 2-line block ×6, first 2 shown]
.LBB0_18:
	s_or_b32 exec_lo, exec_lo, s0
	v_mul_hi_u32 v2, 0x6666667, v1
	v_cmp_gt_u32_e64 s0, 0x118, v0
	v_cmp_lt_u32_e32 vcc_lo, 0x117, v0
	v_mul_lo_u32 v24, v5, 40
	v_mul_hi_u32_u24_e32 v25, 0xea0ea1, v0
	v_mul_lo_u32 v10, s18, v10
	v_cndmask_b32_e64 v0, 0, 1, s0
	s_or_b32 vcc_lo, vcc_lo, s9
	v_mul_u32_u24_e32 v2, 40, v2
	s_mul_i32 s1, s4, s8
	s_add_i32 s4, 0, 0x1ea0
	v_cndmask_b32_e32 v0, v11, v0, vcc_lo
	s_add_i32 s5, s1, s17
	v_sub_nc_u32_e32 v23, v1, v2
	s_mov_b32 s0, s22
	s_mov_b32 s1, s23
	v_and_b32_e32 v0, 1, v0
	s_lshl_b32 s5, s5, 2
	v_mul_u32_u24_e32 v1, 6, v23
	v_mul_lo_u32 v5, v23, v5
	v_mad_u32_u24 v11, 0x118, v25, v23
	v_cmp_eq_u32_e32 vcc_lo, 1, v0
	v_lshlrev_b32_e32 v6, 2, v1
	s_clause 0x1
	global_load_dwordx4 v[1:4], v6, s[2:3] offset:128
	global_load_dwordx2 v[6:7], v6, s[2:3] offset:144
	v_and_b32_e32 v30, 63, v5
	v_lshrrev_b32_e32 v31, 4, v5
	v_lshrrev_b32_e32 v32, 10, v5
	v_add_nc_u32_e32 v5, v5, v24
	v_mul_lo_u32 v23, s16, v11
	v_add_nc_u32_e32 v25, 40, v11
	v_add_nc_u32_e32 v26, 0x50, v11
	;; [unrolled: 1-line block ×6, first 2 shown]
	v_and_b32_e32 v33, 63, v5
	v_lshrrev_b32_e32 v34, 4, v5
	v_lshrrev_b32_e32 v35, 10, v5
	v_add_nc_u32_e32 v5, v5, v24
	v_mul_lo_u32 v25, s16, v25
	v_mul_lo_u32 v26, s16, v26
	;; [unrolled: 1-line block ×5, first 2 shown]
	v_lshl_add_u32 v30, v30, 2, 0
	v_mul_lo_u32 v11, s16, v11
	v_add_lshl_u32 v23, v10, v23, 2
	v_and_b32_e32 v35, 0xfc, v35
	v_lshrrev_b32_e32 v37, 4, v5
	v_and_b32_e32 v31, 0xfc, v31
	v_and_b32_e32 v32, 0xfc, v32
	;; [unrolled: 1-line block ×4, first 2 shown]
	v_lshrrev_b32_e32 v38, 10, v5
	v_add_nc_u32_e32 v5, v5, v24
	ds_read_b32 v30, v30 offset:7840
	v_cndmask_b32_e32 v0, -1, v23, vcc_lo
	v_add_lshl_u32 v23, v10, v25, 2
	v_add_lshl_u32 v25, v10, v26, 2
	;; [unrolled: 1-line block ×5, first 2 shown]
	v_add_nc_u32_e32 v29, s4, v35
	v_and_b32_e32 v35, 0xfc, v37
	v_add_nc_u32_e32 v31, s4, v31
	v_add_nc_u32_e32 v32, s4, v32
	v_add_lshl_u32 v10, v10, v11, 2
	v_add_nc_u32_e32 v11, s4, v34
	v_lshl_add_u32 v34, v36, 2, 0
	v_and_b32_e32 v36, 0xfc, v38
	v_and_b32_e32 v37, 63, v5
	v_lshrrev_b32_e32 v38, 4, v5
	v_lshrrev_b32_e32 v39, 10, v5
	v_add_nc_u32_e32 v5, v5, v24
	v_lshl_add_u32 v33, v33, 2, 0
	v_add_nc_u32_e32 v35, s4, v35
	ds_read_b32 v31, v31 offset:256
	ds_read_b32 v32, v32 offset:512
	;; [unrolled: 1-line block ×7, first 2 shown]
	v_and_b32_e32 v40, 63, v5
	v_lshrrev_b32_e32 v41, 4, v5
	v_lshrrev_b32_e32 v42, 10, v5
	v_add_nc_u32_e32 v5, v5, v24
	v_and_b32_e32 v38, 0xfc, v38
	v_and_b32_e32 v39, 0xfc, v39
	;; [unrolled: 1-line block ×5, first 2 shown]
	v_lshrrev_b32_e32 v44, 4, v5
	v_lshrrev_b32_e32 v45, 10, v5
	v_add_nc_u32_e32 v5, v5, v24
	v_add_nc_u32_e32 v36, s4, v36
	v_lshl_add_u32 v37, v37, 2, 0
	v_add_nc_u32_e32 v38, s4, v38
	v_add_nc_u32_e32 v39, s4, v39
	v_lshl_add_u32 v40, v40, 2, 0
	s_waitcnt lgkmcnt(7)
	v_lshrrev_b32_e32 v24, 16, v30
	v_add_nc_u32_e32 v41, s4, v41
	v_add_nc_u32_e32 v42, s4, v42
	v_lshl_add_u32 v43, v43, 2, 0
	v_lshrrev_b32_e32 v47, 4, v5
	v_and_b32_e32 v46, 63, v5
	v_lshrrev_b32_e32 v5, 10, v5
	ds_read_b32 v36, v36 offset:512
	ds_read_b32 v37, v37 offset:7840
	;; [unrolled: 1-line block ×8, first 2 shown]
	v_and_b32_e32 v44, 0xfc, v44
	v_and_b32_e32 v45, 0xfc, v45
	s_waitcnt lgkmcnt(14)
	v_mul_f16_sdwa v48, v24, v31 dst_sel:DWORD dst_unused:UNUSED_PAD src0_sel:DWORD src1_sel:WORD_1
	v_mul_f16_sdwa v49, v30, v31 dst_sel:DWORD dst_unused:UNUSED_PAD src0_sel:DWORD src1_sel:WORD_1
	s_waitcnt lgkmcnt(12)
	v_lshrrev_b32_e32 v50, 16, v33
	v_and_b32_e32 v47, 0xfc, v47
	v_and_b32_e32 v5, 0xfc, v5
	v_add_nc_u32_e32 v44, s4, v44
	v_add_nc_u32_e32 v45, s4, v45
	v_lshl_add_u32 v46, v46, 2, 0
	v_fma_f16 v30, v30, v31, -v48
	v_fmac_f16_e32 v49, v24, v31
	s_waitcnt lgkmcnt(11)
	v_mul_f16_sdwa v24, v50, v11 dst_sel:DWORD dst_unused:UNUSED_PAD src0_sel:DWORD src1_sel:WORD_1
	v_mul_f16_sdwa v31, v33, v11 dst_sel:DWORD dst_unused:UNUSED_PAD src0_sel:DWORD src1_sel:WORD_1
	s_waitcnt lgkmcnt(9)
	v_lshrrev_b32_e32 v48, 16, v34
	v_add_nc_u32_e32 v47, s4, v47
	v_add_nc_u32_e32 v5, s4, v5
	ds_read_b32 v44, v44 offset:256
	ds_read_b32 v45, v45 offset:512
	ds_read_b32 v46, v46 offset:7840
	ds_read_b32 v47, v47 offset:256
	ds_read_b32 v5, v5 offset:512
	v_mul_f16_sdwa v51, v49, v32 dst_sel:DWORD dst_unused:UNUSED_PAD src0_sel:DWORD src1_sel:WORD_1
	v_mul_f16_sdwa v52, v30, v32 dst_sel:DWORD dst_unused:UNUSED_PAD src0_sel:DWORD src1_sel:WORD_1
	v_fma_f16 v24, v33, v11, -v24
	v_fmac_f16_e32 v31, v50, v11
	s_waitcnt lgkmcnt(13)
	v_mul_f16_sdwa v11, v48, v35 dst_sel:DWORD dst_unused:UNUSED_PAD src0_sel:DWORD src1_sel:WORD_1
	v_mul_f16_sdwa v33, v34, v35 dst_sel:DWORD dst_unused:UNUSED_PAD src0_sel:DWORD src1_sel:WORD_1
	s_waitcnt lgkmcnt(11)
	v_lshrrev_b32_e32 v50, 16, v37
	v_fma_f16 v30, v32, v30, -v51
	v_fmac_f16_e32 v52, v32, v49
	v_mul_f16_sdwa v32, v31, v29 dst_sel:DWORD dst_unused:UNUSED_PAD src0_sel:DWORD src1_sel:WORD_1
	v_mul_f16_sdwa v49, v24, v29 dst_sel:DWORD dst_unused:UNUSED_PAD src0_sel:DWORD src1_sel:WORD_1
	v_fma_f16 v11, v34, v35, -v11
	v_fmac_f16_e32 v33, v48, v35
	s_waitcnt lgkmcnt(10)
	v_mul_f16_sdwa v34, v50, v38 dst_sel:DWORD dst_unused:UNUSED_PAD src0_sel:DWORD src1_sel:WORD_1
	v_mul_f16_sdwa v35, v37, v38 dst_sel:DWORD dst_unused:UNUSED_PAD src0_sel:DWORD src1_sel:WORD_1
	s_waitcnt lgkmcnt(8)
	v_lshrrev_b32_e32 v48, 16, v40
	v_fma_f16 v24, v29, v24, -v32
	v_fmac_f16_e32 v49, v29, v31
	v_mul_f16_sdwa v29, v33, v36 dst_sel:DWORD dst_unused:UNUSED_PAD src0_sel:DWORD src1_sel:WORD_1
	v_mul_f16_sdwa v31, v11, v36 dst_sel:DWORD dst_unused:UNUSED_PAD src0_sel:DWORD src1_sel:WORD_1
	v_fma_f16 v32, v37, v38, -v34
	v_fmac_f16_e32 v35, v50, v38
	s_waitcnt lgkmcnt(7)
	v_mul_f16_sdwa v34, v48, v41 dst_sel:DWORD dst_unused:UNUSED_PAD src0_sel:DWORD src1_sel:WORD_1
	v_mul_f16_sdwa v37, v40, v41 dst_sel:DWORD dst_unused:UNUSED_PAD src0_sel:DWORD src1_sel:WORD_1
	s_waitcnt lgkmcnt(5)
	v_lshrrev_b32_e32 v38, 16, v43
	v_fma_f16 v11, v36, v11, -v29
	v_fmac_f16_e32 v31, v36, v33
	v_mul_f16_sdwa v29, v35, v39 dst_sel:DWORD dst_unused:UNUSED_PAD src0_sel:DWORD src1_sel:WORD_1
	v_mul_f16_sdwa v33, v32, v39 dst_sel:DWORD dst_unused:UNUSED_PAD src0_sel:DWORD src1_sel:WORD_1
	v_fma_f16 v34, v40, v41, -v34
	v_fmac_f16_e32 v37, v48, v41
	s_waitcnt lgkmcnt(2)
	v_lshrrev_b32_e32 v41, 16, v46
	v_mul_f16_sdwa v36, v38, v44 dst_sel:DWORD dst_unused:UNUSED_PAD src0_sel:DWORD src1_sel:WORD_1
	v_mul_f16_sdwa v40, v43, v44 dst_sel:DWORD dst_unused:UNUSED_PAD src0_sel:DWORD src1_sel:WORD_1
	v_fma_f16 v29, v39, v32, -v29
	v_fmac_f16_e32 v33, v39, v35
	s_waitcnt lgkmcnt(1)
	v_mul_f16_sdwa v35, v46, v47 dst_sel:DWORD dst_unused:UNUSED_PAD src0_sel:DWORD src1_sel:WORD_1
	v_mul_f16_sdwa v39, v41, v47 dst_sel:DWORD dst_unused:UNUSED_PAD src0_sel:DWORD src1_sel:WORD_1
	;; [unrolled: 1-line block ×3, first 2 shown]
	v_fmac_f16_e32 v40, v38, v44
	v_fma_f16 v36, v43, v44, -v36
	v_fmac_f16_e32 v35, v41, v47
	v_fma_f16 v38, v46, v47, -v39
	v_mul_f16_sdwa v48, v34, v42 dst_sel:DWORD dst_unused:UNUSED_PAD src0_sel:DWORD src1_sel:WORD_1
	v_fma_f16 v32, v42, v34, -v32
	v_mul_f16_sdwa v34, v40, v45 dst_sel:DWORD dst_unused:UNUSED_PAD src0_sel:DWORD src1_sel:WORD_1
	v_mul_f16_sdwa v39, v36, v45 dst_sel:DWORD dst_unused:UNUSED_PAD src0_sel:DWORD src1_sel:WORD_1
	s_waitcnt lgkmcnt(0)
	v_mul_f16_sdwa v41, v35, v5 dst_sel:DWORD dst_unused:UNUSED_PAD src0_sel:DWORD src1_sel:WORD_1
	v_mul_f16_sdwa v43, v38, v5 dst_sel:DWORD dst_unused:UNUSED_PAD src0_sel:DWORD src1_sel:WORD_1
	v_fmac_f16_e32 v48, v42, v37
	v_fma_f16 v34, v45, v36, -v34
	v_fmac_f16_e32 v39, v45, v40
	v_fma_f16 v36, v5, v38, -v41
	v_fmac_f16_e32 v43, v5, v35
	s_mov_b32 s3, 0x31014000
	s_mov_b32 s2, -2
	v_cndmask_b32_e32 v23, -1, v23, vcc_lo
	v_cndmask_b32_e32 v25, -1, v25, vcc_lo
	;; [unrolled: 1-line block ×6, first 2 shown]
	s_waitcnt vmcnt(1)
	v_mul_f16_sdwa v5, v21, v1 dst_sel:DWORD dst_unused:UNUSED_PAD src0_sel:DWORD src1_sel:WORD_1
	v_mul_f16_sdwa v35, v18, v1 dst_sel:DWORD dst_unused:UNUSED_PAD src0_sel:DWORD src1_sel:WORD_1
	;; [unrolled: 1-line block ×8, first 2 shown]
	s_waitcnt vmcnt(0)
	v_pk_mul_f16 v45, v8, v6
	v_mul_f16_sdwa v47, v15, v7 dst_sel:DWORD dst_unused:UNUSED_PAD src0_sel:DWORD src1_sel:WORD_1
	v_mul_f16_sdwa v46, v8, v6 dst_sel:DWORD dst_unused:UNUSED_PAD src0_sel:WORD_1 src1_sel:DWORD
	v_lshrrev_b32_e32 v6, 16, v6
	v_mul_f16_sdwa v50, v9, v7 dst_sel:DWORD dst_unused:UNUSED_PAD src0_sel:DWORD src1_sel:WORD_1
	v_fma_f16 v5, v18, v1, -v5
	v_fmac_f16_e32 v35, v21, v1
	v_fma_f16 v1, v19, v2, -v37
	v_fmac_f16_e32 v38, v22, v2
	;; [unrolled: 2-line block ×3, first 2 shown]
	v_fma_f16 v3, v17, v4, -v42
	v_fma_f16 v9, v9, v7, -v47
	v_fmac_f16_e32 v44, v20, v4
	v_sub_f16_sdwa v4, v45, v45 dst_sel:DWORD dst_unused:UNUSED_PAD src0_sel:DWORD src1_sel:WORD_1
	v_fmac_f16_e32 v50, v15, v7
	v_fmac_f16_e32 v46, v8, v6
	v_add_f16_e32 v6, v5, v9
	v_sub_f16_e32 v5, v5, v9
	v_add_f16_e32 v9, v1, v4
	v_add_f16_e32 v7, v35, v50
	;; [unrolled: 1-line block ×3, first 2 shown]
	v_sub_f16_e32 v8, v35, v50
	v_sub_f16_e32 v1, v1, v4
	;; [unrolled: 1-line block ×3, first 2 shown]
	v_add_f16_e32 v13, v2, v3
	v_add_f16_e32 v15, v41, v44
	v_sub_f16_e32 v2, v3, v2
	v_sub_f16_e32 v3, v44, v41
	v_add_f16_e32 v17, v9, v6
	v_add_f16_e32 v18, v12, v7
	v_sub_f16_e32 v19, v9, v6
	v_sub_f16_e32 v20, v12, v7
	;; [unrolled: 1-line block ×6, first 2 shown]
	v_add_f16_e32 v22, v3, v4
	v_sub_f16_e32 v37, v3, v4
	v_sub_f16_e32 v4, v4, v8
	v_add_f16_e32 v13, v13, v17
	v_add_f16_e32 v21, v2, v1
	v_sub_f16_e32 v35, v2, v1
	v_sub_f16_e32 v1, v1, v5
	v_add_f16_e32 v15, v15, v18
	v_sub_f16_e32 v3, v8, v3
	v_add_f16_e32 v8, v22, v8
	v_mul_f16_e32 v6, 0x3a52, v6
	v_mul_f16_e32 v7, 0x3a52, v7
	;; [unrolled: 1-line block ×5, first 2 shown]
	v_add_f16_e32 v14, v14, v13
	v_mul_f16_e32 v17, 0x2b26, v9
	v_sub_f16_e32 v2, v5, v2
	v_add_f16_e32 v5, v21, v5
	v_mul_f16_e32 v21, 0xb846, v35
	v_mul_f16_e32 v35, 0x3b00, v1
	v_add_f16_e32 v16, v16, v15
	v_fmamk_f16 v9, v9, 0x2b26, v6
	v_fmamk_f16 v12, v12, 0x2b26, v7
	v_fma_f16 v18, v20, 0x39e0, -v18
	v_fma_f16 v7, v20, 0xb9e0, -v7
	v_fmamk_f16 v20, v3, 0x3574, v22
	v_fma_f16 v4, v4, 0x3b00, -v22
	v_fma_f16 v3, v3, 0xb574, -v37
	;; [unrolled: 3-line block ×3, first 2 shown]
	v_fmamk_f16 v19, v2, 0x3574, v21
	v_fma_f16 v2, v2, 0xb574, -v35
	v_fmamk_f16 v15, v15, 0xbcab, v16
	v_fma_f16 v1, v1, 0x3b00, -v21
	v_fmac_f16_e32 v20, 0x370e, v8
	v_fmac_f16_e32 v4, 0x370e, v8
	v_fmac_f16_e32 v3, 0x370e, v8
	v_mul_f16_e32 v8, v14, v52
	v_add_f16_e32 v9, v9, v13
	v_add_f16_e32 v6, v6, v13
	;; [unrolled: 1-line block ×3, first 2 shown]
	v_fmac_f16_e32 v2, 0x370e, v5
	v_add_f16_e32 v7, v7, v15
	v_fmac_f16_e32 v19, 0x370e, v5
	v_fmac_f16_e32 v1, 0x370e, v5
	v_mul_f16_e32 v5, v16, v52
	v_add_f16_e32 v12, v12, v15
	v_fmac_f16_e32 v8, v16, v30
	v_add_f16_e32 v13, v20, v9
	v_add_f16_e32 v18, v18, v15
	;; [unrolled: 1-line block ×3, first 2 shown]
	v_sub_f16_e32 v21, v17, v4
	v_sub_f16_e32 v16, v7, v2
	v_add_f16_e32 v4, v4, v17
	v_sub_f16_e32 v3, v6, v3
	v_fma_f16 v5, v14, v30, -v5
	v_sub_f16_e32 v14, v12, v19
	v_add_f16_e32 v2, v2, v7
	v_sub_f16_e32 v6, v9, v20
	v_add_f16_e32 v7, v19, v12
	v_lshlrev_b32_e32 v8, 16, v8
	v_mul_f16_e32 v12, v13, v49
	v_add_f16_e32 v22, v1, v18
	v_sub_f16_e32 v1, v18, v1
	v_mul_f16_e32 v18, v15, v31
	v_mul_f16_e32 v20, v21, v33
	;; [unrolled: 1-line block ×7, first 2 shown]
	v_or_b32_sdwa v5, v8, v5 dst_sel:DWORD dst_unused:UNUSED_PAD src0_sel:DWORD src1_sel:WORD_0
	v_fmac_f16_e32 v12, v14, v24
	v_mul_f16_e32 v19, v22, v33
	v_mul_f16_e32 v33, v2, v39
	v_fmac_f16_e32 v18, v16, v11
	v_fmac_f16_e32 v20, v22, v29
	v_mul_f16_e32 v30, v1, v48
	v_mul_f16_e32 v37, v7, v43
	v_fmac_f16_e32 v31, v1, v32
	v_fmac_f16_e32 v35, v2, v34
	v_fma_f16 v8, v13, v24, -v9
	v_fmac_f16_e32 v38, v7, v36
	buffer_store_dword v5, v0, s[0:3], s5 offen
	v_lshlrev_b32_e32 v0, 16, v12
	v_fma_f16 v9, v15, v11, -v17
	v_fma_f16 v1, v3, v34, -v33
	v_lshlrev_b32_e32 v3, 16, v18
	v_fma_f16 v11, v21, v29, -v19
	v_lshlrev_b32_e32 v5, 16, v20
	v_fma_f16 v4, v4, v32, -v30
	v_fma_f16 v2, v6, v36, -v37
	v_lshlrev_b32_e32 v6, 16, v31
	v_lshlrev_b32_e32 v7, 16, v35
	;; [unrolled: 1-line block ×3, first 2 shown]
	v_or_b32_sdwa v0, v0, v8 dst_sel:DWORD dst_unused:UNUSED_PAD src0_sel:DWORD src1_sel:WORD_0
	v_or_b32_sdwa v3, v3, v9 dst_sel:DWORD dst_unused:UNUSED_PAD src0_sel:DWORD src1_sel:WORD_0
	;; [unrolled: 1-line block ×6, first 2 shown]
	buffer_store_dword v0, v23, s[0:3], s5 offen
	buffer_store_dword v3, v25, s[0:3], s5 offen
	;; [unrolled: 1-line block ×6, first 2 shown]
	s_endpgm
	.section	.rodata,"a",@progbits
	.p2align	6, 0x0
	.amdhsa_kernel fft_rtc_fwd_len280_factors_8_5_7_wgs_392_tpt_56_half_op_CI_CI_sbcc_twdbase6_3step_dirReg_intrinsicReadWrite
		.amdhsa_group_segment_fixed_size 0
		.amdhsa_private_segment_fixed_size 0
		.amdhsa_kernarg_size 112
		.amdhsa_user_sgpr_count 6
		.amdhsa_user_sgpr_private_segment_buffer 1
		.amdhsa_user_sgpr_dispatch_ptr 0
		.amdhsa_user_sgpr_queue_ptr 0
		.amdhsa_user_sgpr_kernarg_segment_ptr 1
		.amdhsa_user_sgpr_dispatch_id 0
		.amdhsa_user_sgpr_flat_scratch_init 0
		.amdhsa_user_sgpr_private_segment_size 0
		.amdhsa_wavefront_size32 1
		.amdhsa_uses_dynamic_stack 0
		.amdhsa_system_sgpr_private_segment_wavefront_offset 0
		.amdhsa_system_sgpr_workgroup_id_x 1
		.amdhsa_system_sgpr_workgroup_id_y 0
		.amdhsa_system_sgpr_workgroup_id_z 0
		.amdhsa_system_sgpr_workgroup_info 0
		.amdhsa_system_vgpr_workitem_id 0
		.amdhsa_next_free_vgpr 53
		.amdhsa_next_free_sgpr 53
		.amdhsa_reserve_vcc 1
		.amdhsa_reserve_flat_scratch 0
		.amdhsa_float_round_mode_32 0
		.amdhsa_float_round_mode_16_64 0
		.amdhsa_float_denorm_mode_32 3
		.amdhsa_float_denorm_mode_16_64 3
		.amdhsa_dx10_clamp 1
		.amdhsa_ieee_mode 1
		.amdhsa_fp16_overflow 0
		.amdhsa_workgroup_processor_mode 1
		.amdhsa_memory_ordered 1
		.amdhsa_forward_progress 0
		.amdhsa_shared_vgpr_count 0
		.amdhsa_exception_fp_ieee_invalid_op 0
		.amdhsa_exception_fp_denorm_src 0
		.amdhsa_exception_fp_ieee_div_zero 0
		.amdhsa_exception_fp_ieee_overflow 0
		.amdhsa_exception_fp_ieee_underflow 0
		.amdhsa_exception_fp_ieee_inexact 0
		.amdhsa_exception_int_div_zero 0
	.end_amdhsa_kernel
	.text
.Lfunc_end0:
	.size	fft_rtc_fwd_len280_factors_8_5_7_wgs_392_tpt_56_half_op_CI_CI_sbcc_twdbase6_3step_dirReg_intrinsicReadWrite, .Lfunc_end0-fft_rtc_fwd_len280_factors_8_5_7_wgs_392_tpt_56_half_op_CI_CI_sbcc_twdbase6_3step_dirReg_intrinsicReadWrite
                                        ; -- End function
	.section	.AMDGPU.csdata,"",@progbits
; Kernel info:
; codeLenInByte = 5608
; NumSgprs: 55
; NumVgprs: 53
; ScratchSize: 0
; MemoryBound: 0
; FloatMode: 240
; IeeeMode: 1
; LDSByteSize: 0 bytes/workgroup (compile time only)
; SGPRBlocks: 6
; VGPRBlocks: 6
; NumSGPRsForWavesPerEU: 55
; NumVGPRsForWavesPerEU: 53
; Occupancy: 13
; WaveLimiterHint : 0
; COMPUTE_PGM_RSRC2:SCRATCH_EN: 0
; COMPUTE_PGM_RSRC2:USER_SGPR: 6
; COMPUTE_PGM_RSRC2:TRAP_HANDLER: 0
; COMPUTE_PGM_RSRC2:TGID_X_EN: 1
; COMPUTE_PGM_RSRC2:TGID_Y_EN: 0
; COMPUTE_PGM_RSRC2:TGID_Z_EN: 0
; COMPUTE_PGM_RSRC2:TIDIG_COMP_CNT: 0
	.text
	.p2alignl 6, 3214868480
	.fill 48, 4, 3214868480
	.type	__hip_cuid_c8f856d90cd7c07d,@object ; @__hip_cuid_c8f856d90cd7c07d
	.section	.bss,"aw",@nobits
	.globl	__hip_cuid_c8f856d90cd7c07d
__hip_cuid_c8f856d90cd7c07d:
	.byte	0                               ; 0x0
	.size	__hip_cuid_c8f856d90cd7c07d, 1

	.ident	"AMD clang version 19.0.0git (https://github.com/RadeonOpenCompute/llvm-project roc-6.4.0 25133 c7fe45cf4b819c5991fe208aaa96edf142730f1d)"
	.section	".note.GNU-stack","",@progbits
	.addrsig
	.addrsig_sym __hip_cuid_c8f856d90cd7c07d
	.amdgpu_metadata
---
amdhsa.kernels:
  - .args:
      - .actual_access:  read_only
        .address_space:  global
        .offset:         0
        .size:           8
        .value_kind:     global_buffer
      - .address_space:  global
        .offset:         8
        .size:           8
        .value_kind:     global_buffer
      - .offset:         16
        .size:           8
        .value_kind:     by_value
      - .actual_access:  read_only
        .address_space:  global
        .offset:         24
        .size:           8
        .value_kind:     global_buffer
      - .actual_access:  read_only
        .address_space:  global
        .offset:         32
        .size:           8
        .value_kind:     global_buffer
      - .actual_access:  read_only
        .address_space:  global
        .offset:         40
        .size:           8
        .value_kind:     global_buffer
      - .offset:         48
        .size:           8
        .value_kind:     by_value
      - .actual_access:  read_only
        .address_space:  global
        .offset:         56
        .size:           8
        .value_kind:     global_buffer
      - .actual_access:  read_only
        .address_space:  global
        .offset:         64
        .size:           8
        .value_kind:     global_buffer
      - .offset:         72
        .size:           4
        .value_kind:     by_value
      - .actual_access:  read_only
        .address_space:  global
        .offset:         80
        .size:           8
        .value_kind:     global_buffer
      - .actual_access:  read_only
        .address_space:  global
        .offset:         88
        .size:           8
        .value_kind:     global_buffer
      - .address_space:  global
        .offset:         96
        .size:           8
        .value_kind:     global_buffer
      - .address_space:  global
        .offset:         104
        .size:           8
        .value_kind:     global_buffer
    .group_segment_fixed_size: 0
    .kernarg_segment_align: 8
    .kernarg_segment_size: 112
    .language:       OpenCL C
    .language_version:
      - 2
      - 0
    .max_flat_workgroup_size: 392
    .name:           fft_rtc_fwd_len280_factors_8_5_7_wgs_392_tpt_56_half_op_CI_CI_sbcc_twdbase6_3step_dirReg_intrinsicReadWrite
    .private_segment_fixed_size: 0
    .sgpr_count:     55
    .sgpr_spill_count: 0
    .symbol:         fft_rtc_fwd_len280_factors_8_5_7_wgs_392_tpt_56_half_op_CI_CI_sbcc_twdbase6_3step_dirReg_intrinsicReadWrite.kd
    .uniform_work_group_size: 1
    .uses_dynamic_stack: false
    .vgpr_count:     53
    .vgpr_spill_count: 0
    .wavefront_size: 32
    .workgroup_processor_mode: 1
amdhsa.target:   amdgcn-amd-amdhsa--gfx1030
amdhsa.version:
  - 1
  - 2
...

	.end_amdgpu_metadata
